;; amdgpu-corpus repo=ROCm/bitsandbytes kind=harvested arch=n/a opt=n/a
	.text
	.amdgcn_target "amdgcn-amd-amdhsa--gfx942"
	.amdhsa_code_object_version 6
	.protected	_Z26kOptimizerStatic8bit1StateI6__halfLi2EEvPT_S2_PhPKffffffifPfS6_S6_ffi ; -- Begin function _Z26kOptimizerStatic8bit1StateI6__halfLi2EEvPT_S2_PhPKffffffifPfS6_S6_ffi
	.globl	_Z26kOptimizerStatic8bit1StateI6__halfLi2EEvPT_S2_PhPKffffffifPfS6_S6_ffi
	.p2align	8
	.type	_Z26kOptimizerStatic8bit1StateI6__halfLi2EEvPT_S2_PhPKffffffifPfS6_S6_ffi,@function
_Z26kOptimizerStatic8bit1StateI6__halfLi2EEvPT_S2_PhPKffffffifPfS6_S6_ffi: ; @_Z26kOptimizerStatic8bit1StateI6__halfLi2EEvPT_S2_PhPKffffffifPfS6_S6_ffi
; %bb.0:
	s_load_dword s3, s[0:1], 0x68
	s_load_dword s6, s[0:1], 0x74
	s_movk_i32 s4, 0x100
	v_cmp_gt_u32_e32 vcc, s4, v0
	v_lshlrev_b32_e32 v8, 2, v0
	s_and_saveexec_b64 s[4:5], vcc
	s_cbranch_execz .LBB84_2
; %bb.1:
	s_load_dwordx2 s[8:9], s[0:1], 0x40
	s_waitcnt lgkmcnt(0)
	global_load_dword v1, v8, s[8:9]
	s_waitcnt vmcnt(0)
	ds_write_b32 v8, v1 offset:8448
.LBB84_2:
	s_or_b64 exec, exec, s[4:5]
	s_waitcnt lgkmcnt(0)
	s_and_b32 s4, 0xffff, s6
	s_mul_i32 s5, s3, s4
	s_mul_i32 s2, s2, s4
	s_lshl_b32 s27, s5, 2
	s_lshl_b32 s14, s2, 2
	s_mov_b32 s26, 0xffff
	s_cmp_ge_u32 s14, s27
	s_barrier
	s_cbranch_scc1 .LBB84_111
; %bb.3:
	s_load_dwordx8 s[16:23], s[0:1], 0x48
	s_load_dwordx4 s[4:7], s[0:1], 0x0
	s_load_dwordx2 s[8:9], s[0:1], 0x10
	v_mbcnt_lo_u32_b32 v3, -1, 0
	v_and_b32_e32 v0, 0x3c0, v0
	s_waitcnt lgkmcnt(0)
	s_load_dword s2, s[18:19], 0x0
	s_load_dword s23, s[0:1], 0x28
	;; [unrolled: 1-line block ×4, first 2 shown]
	s_mov_b32 s15, 0
	s_waitcnt lgkmcnt(0)
	v_div_scale_f32 v1, s[0:1], s2, s2, 1.0
	v_rcp_f32_e32 v2, v1
	v_div_scale_f32 v4, vcc, 1.0, s2, 1.0
	v_cmp_gt_f32_e64 s[0:1], s20, 0
	v_fma_f32 v5, -v1, v2, 1.0
	v_fmac_f32_e32 v2, v5, v2
	v_mul_f32_e32 v5, v4, v2
	v_fma_f32 v6, -v1, v5, v4
	v_fmac_f32_e32 v5, v6, v2
	v_fma_f32 v1, -v1, v5, v4
	v_div_fmas_f32 v1, v1, v2, v5
	v_mbcnt_hi_u32_b32 v2, -1, v3
	v_and_b32_e32 v6, 0xf00, v8
	v_or_b32_e32 v19, v2, v6
	v_add_u32_e32 v20, 64, v19
	v_lshrrev_b32_e32 v9, 5, v19
	v_div_fixup_f32 v18, v1, s2, 1.0
	v_or_b32_e32 v21, 0x80, v19
	v_and_b32_e32 v1, 0x7a, v9
	v_lshrrev_b32_e32 v14, 5, v20
	v_add_u32_e32 v22, 0xc0, v19
	v_add_lshl_u32 v23, v1, v19, 1
	v_and_b32_e32 v1, 0x7e, v14
	v_lshrrev_b32_e32 v15, 5, v21
	v_add_u32_e32 v0, v2, v0
	v_add_lshl_u32 v24, v1, v20, 1
	v_and_b32_e32 v1, 0x7e, v15
	v_lshrrev_b32_e32 v16, 5, v22
	v_bfe_u32 v31, v0, 3, 27
	v_mov_b32_e32 v3, 0
	v_add_lshl_u32 v25, v1, v21, 1
	v_and_b32_e32 v1, 0xfe, v16
	v_lshlrev_b32_e32 v17, 2, v0
	v_and_b32_e32 v0, 0xfe, v31
	v_mov_b32_e32 v7, v3
	v_add_lshl_u32 v26, v1, v22, 1
	v_add_lshl_u32 v27, v0, v17, 1
	v_lshl_add_u64 v[0:1], s[8:9], 0, v[2:3]
	v_lshlrev_b32_e32 v12, 1, v6
	v_lshl_add_u64 v[0:1], v[0:1], 0, v[6:7]
	v_and_b32_e32 v6, 0x7c, v14
	v_add_u32_e32 v28, v6, v20
	v_and_b32_e32 v6, 0x7c, v15
	v_add_u32_e32 v29, v6, v21
	v_and_b32_e32 v6, 0xfc, v16
	v_lshlrev_b32_e32 v10, 1, v2
	v_mov_b32_e32 v11, v3
	v_add_u32_e32 v30, v6, v22
	v_and_b32_e32 v6, 0xfc, v31
	v_lshl_add_u64 v[4:5], s[6:7], 0, v[10:11]
	v_mov_b32_e32 v13, v3
	v_and_b32_e32 v2, 0x78, v9
	v_add_u32_e32 v31, v6, v17
	v_lshl_add_u64 v[6:7], s[4:5], 0, v[10:11]
	v_lshl_add_u64 v[4:5], v[4:5], 0, v[12:13]
	v_add_u32_e32 v2, v2, v19
	v_lshl_add_u64 v[6:7], v[6:7], 0, v[12:13]
	v_sub_f32_e64 v32, 1.0, s23
	s_lshl_b32 s30, s3, 12
	s_sub_i32 s31, s22, s14
	v_add_u32_e32 v33, 4, v8
	s_movk_i32 s33, 0xff
	s_mov_b32 s34, 0x3020104
	s_mov_b32 s35, 0x7060004
	s_movk_i32 s36, 0xff00
	s_mov_b32 s37, 0xffff0000
	s_movk_i32 s38, 0x100
	s_mov_b32 s39, 0x7000504
	s_mov_b32 s40, 0x60504
	s_mov_b32 s41, 0xf800000
	v_mov_b32_e32 v34, 0x260
	s_movk_i32 s42, 0x2000
	v_mov_b32_e32 v35, 2
	v_mov_b32_e32 v36, 0x7f
	;; [unrolled: 1-line block ×3, first 2 shown]
	v_not_b32_e32 v38, 31
	v_mov_b32_e32 v39, 0xff
                                        ; implicit-def: $vgpr40
                                        ; implicit-def: $vgpr11
                                        ; implicit-def: $vgpr41
	s_branch .LBB84_6
.LBB84_4:                               ;   in Loop: Header=BB84_6 Depth=1
	s_or_b64 exec, exec, s[2:3]
	s_waitcnt lgkmcnt(0)
	s_barrier
.LBB84_5:                               ;   in Loop: Header=BB84_6 Depth=1
	s_or_b64 exec, exec, s[18:19]
	s_add_i32 s14, s14, s30
	s_sub_i32 s31, s31, s30
	s_cmp_ge_u32 s14, s27
	s_cbranch_scc1 .LBB84_111
.LBB84_6:                               ; =>This Inner Loop Header: Depth=1
	s_min_u32 s10, s31, 0x1000
	v_lshl_add_u64 v[8:9], s[14:15], 1, v[4:5]
	v_cmp_gt_u32_e64 s[2:3], s10, v19
	v_mov_b32_e32 v12, 0
	s_and_saveexec_b64 s[4:5], s[2:3]
	s_cbranch_execz .LBB84_8
; %bb.7:                                ;   in Loop: Header=BB84_6 Depth=1
	global_load_ushort v12, v[8:9], off
.LBB84_8:                               ;   in Loop: Header=BB84_6 Depth=1
	s_or_b64 exec, exec, s[4:5]
	v_cmp_gt_u32_e64 s[4:5], s10, v20
	v_mov_b32_e32 v13, 0
	v_mov_b32_e32 v14, 0
	s_and_saveexec_b64 s[6:7], s[4:5]
	s_cbranch_execz .LBB84_10
; %bb.9:                                ;   in Loop: Header=BB84_6 Depth=1
	global_load_ushort v14, v[8:9], off offset:128
.LBB84_10:                              ;   in Loop: Header=BB84_6 Depth=1
	s_or_b64 exec, exec, s[6:7]
	v_cmp_gt_u32_e64 s[6:7], s10, v21
	s_and_saveexec_b64 s[8:9], s[6:7]
	s_cbranch_execz .LBB84_12
; %bb.11:                               ;   in Loop: Header=BB84_6 Depth=1
	global_load_ushort v13, v[8:9], off offset:256
.LBB84_12:                              ;   in Loop: Header=BB84_6 Depth=1
	s_or_b64 exec, exec, s[8:9]
	v_cmp_gt_u32_e64 s[8:9], s10, v22
	v_mov_b32_e32 v15, 0
	s_and_saveexec_b64 s[10:11], s[8:9]
	s_cbranch_execz .LBB84_14
; %bb.13:                               ;   in Loop: Header=BB84_6 Depth=1
	global_load_ushort v15, v[8:9], off offset:384
.LBB84_14:                              ;   in Loop: Header=BB84_6 Depth=1
	s_or_b64 exec, exec, s[10:11]
	s_waitcnt vmcnt(0)
	ds_write_b16 v23, v12
	ds_write_b16 v24, v14
	;; [unrolled: 1-line block ×4, first 2 shown]
	; wave barrier
	ds_read_b64 v[14:15], v27
	v_lshl_add_u64 v[8:9], v[0:1], 0, s[14:15]
	v_mov_b32_e32 v12, 0x80
	v_mov_b32_e32 v13, 0x80
	;; [unrolled: 1-line block ×3, first 2 shown]
	s_waitcnt lgkmcnt(0)
	s_barrier
	s_and_saveexec_b64 s[10:11], s[2:3]
	s_cbranch_execnz .LBB84_98
; %bb.15:                               ;   in Loop: Header=BB84_6 Depth=1
	s_or_b64 exec, exec, s[10:11]
	v_mov_b32_e32 v17, v12
	s_and_saveexec_b64 s[10:11], s[4:5]
	s_cbranch_execnz .LBB84_99
.LBB84_16:                              ;   in Loop: Header=BB84_6 Depth=1
	s_or_b64 exec, exec, s[10:11]
	s_and_saveexec_b64 s[10:11], s[6:7]
	s_cbranch_execnz .LBB84_100
.LBB84_17:                              ;   in Loop: Header=BB84_6 Depth=1
	s_or_b64 exec, exec, s[10:11]
	s_and_saveexec_b64 s[10:11], s[8:9]
	s_cbranch_execz .LBB84_19
.LBB84_18:                              ;   in Loop: Header=BB84_6 Depth=1
	global_load_ubyte v16, v[8:9], off offset:192
.LBB84_19:                              ;   in Loop: Header=BB84_6 Depth=1
	s_or_b64 exec, exec, s[10:11]
	s_waitcnt vmcnt(0)
	ds_write_b8 v2, v13
	ds_write_b8 v28, v17
	ds_write_b8 v29, v12
	ds_write_b8 v30, v16
	; wave barrier
	ds_read_u8 v16, v31
	ds_read_u8 v48, v31 offset:1
	ds_read_u8 v45, v31 offset:2
	;; [unrolled: 1-line block ×3, first 2 shown]
	v_lshl_add_u64 v[12:13], s[14:15], 1, v[6:7]
	s_waitcnt lgkmcnt(0)
	s_barrier
	s_and_saveexec_b64 s[10:11], s[2:3]
	s_cbranch_execnz .LBB84_101
; %bb.20:                               ;   in Loop: Header=BB84_6 Depth=1
	s_or_b64 exec, exec, s[10:11]
	s_and_saveexec_b64 s[10:11], s[4:5]
	s_cbranch_execnz .LBB84_102
.LBB84_21:                              ;   in Loop: Header=BB84_6 Depth=1
	s_or_b64 exec, exec, s[10:11]
	s_and_saveexec_b64 s[10:11], s[6:7]
	s_cbranch_execnz .LBB84_103
.LBB84_22:                              ;   in Loop: Header=BB84_6 Depth=1
	s_or_b64 exec, exec, s[10:11]
	s_and_saveexec_b64 s[10:11], s[8:9]
	s_cbranch_execz .LBB84_24
.LBB84_23:                              ;   in Loop: Header=BB84_6 Depth=1
	global_load_ushort v40, v[12:13], off offset:384
.LBB84_24:                              ;   in Loop: Header=BB84_6 Depth=1
	s_or_b64 exec, exec, s[10:11]
	s_waitcnt vmcnt(0)
	ds_write_b16 v23, v10
	ds_write_b16 v24, v41
	;; [unrolled: 1-line block ×4, first 2 shown]
	; wave barrier
	ds_read_b64 v[10:11], v27
	v_add_u32_e32 v17, s14, v33
	v_cmp_ge_u32_e32 vcc, s22, v17
	s_waitcnt lgkmcnt(0)
	v_lshrrev_b32_e32 v41, 16, v10
	v_lshrrev_b32_e32 v40, 16, v11
	s_and_saveexec_b64 s[18:19], vcc
	s_cbranch_execz .LBB84_5
; %bb.25:                               ;   in Loop: Header=BB84_6 Depth=1
	global_load_dword v46, v3, s[16:17]
	ds_read_b32 v44, v3 offset:9468
	v_add_u32_e64 v17, s42, 0
	v_cvt_f32_f16_e32 v42, v14
	v_lshlrev_b32_sdwa v43, v35, v16 dst_sel:DWORD dst_unused:UNUSED_PAD src0_sel:DWORD src1_sel:BYTE_0
	ds_read2_b32 v[16:17], v17 offset0:64 offset1:191
	ds_read_b32 v43, v43 offset:8448
	v_mov_b32_e32 v52, -16
	v_mul_f32_e32 v42, s21, v42
	v_fma_mix_f32 v49, v10, s20, v42 op_sel_hi:[1,0,0]
	s_waitcnt vmcnt(0) lgkmcnt(0)
	v_mul_f32_e32 v43, v43, v46
	v_cndmask_b32_e64 v42, v42, v49, s[0:1]
	v_mul_f32_e32 v49, v42, v42
	v_mul_f32_e32 v43, s23, v43
	v_fmac_f32_e32 v43, v32, v49
	v_mul_f32_e32 v49, v18, v43
	v_cmp_lt_f32_e32 vcc, v17, v49
	s_nop 1
	v_cndmask_b32_e32 v56, 63, v37, vcc
	v_lshlrev_b32_e32 v50, 2, v56
	ds_read_b32 v57, v50 offset:8448
	v_or_b32_e32 v50, 0x2100, v50
	v_cndmask_b32_e32 v51, 0, v36, vcc
	v_cndmask_b32_e32 v55, -1.0, v17, vcc
	s_waitcnt lgkmcnt(0)
	v_cmp_lt_f32_e64 s[10:11], v57, v49
	s_nop 1
	v_cndmask_b32_e64 v58, v38, 32, s[10:11]
	v_lshl_add_u32 v53, v58, 2, v50
	ds_read_b32 v50, v53
	v_add_u32_e32 v58, v56, v58
	v_cndmask_b32_e64 v54, v51, v56, s[10:11]
	v_cndmask_b32_e64 v55, v55, v57, s[10:11]
	v_mov_b32_e32 v51, v58
	s_waitcnt lgkmcnt(0)
	v_cmp_lt_f32_e64 s[12:13], v50, v49
	s_and_saveexec_b64 s[24:25], s[12:13]
; %bb.26:                               ;   in Loop: Header=BB84_6 Depth=1
	v_cndmask_b32_e32 v51, v36, v39, vcc
	v_cndmask_b32_e64 v52, v17, 1.0, vcc
	v_cndmask_b32_e64 v51, v56, v51, s[10:11]
	v_cndmask_b32_e64 v56, v57, v52, s[10:11]
	v_mov_b32_e32 v52, 16
	v_mov_b32_e32 v54, v58
	v_mov_b32_e32 v55, v50
	v_mov_b32_e32 v50, v56
; %bb.27:                               ;   in Loop: Header=BB84_6 Depth=1
	s_or_b64 exec, exec, s[24:25]
	v_lshl_add_u32 v53, v52, 2, v53
	ds_read_b32 v59, v53
	v_add_u32_e32 v60, v52, v58
	v_mov_b32_e32 v58, -4
	s_waitcnt lgkmcnt(0)
	v_cmp_lt_f32_e32 vcc, v59, v49
	s_nop 1
	v_cndmask_b32_e64 v61, -8, 8, vcc
	v_lshl_add_u32 v57, v61, 2, v53
	ds_read_b32 v53, v57
	v_cndmask_b32_e32 v56, v55, v59, vcc
	v_add_u32_e32 v55, v61, v60
	v_cndmask_b32_e32 v52, v54, v60, vcc
	v_mov_b32_e32 v54, v55
	s_waitcnt lgkmcnt(0)
	v_cmp_lt_f32_e64 s[10:11], v53, v49
	s_and_saveexec_b64 s[12:13], s[10:11]
; %bb.28:                               ;   in Loop: Header=BB84_6 Depth=1
	v_cndmask_b32_e32 v50, v59, v50, vcc
	v_cndmask_b32_e32 v54, v60, v51, vcc
	v_mov_b32_e32 v58, 4
	v_mov_b32_e32 v52, v55
	;; [unrolled: 1-line block ×4, first 2 shown]
; %bb.29:                               ;   in Loop: Header=BB84_6 Depth=1
	s_or_b64 exec, exec, s[12:13]
	v_lshl_add_u32 v50, v58, 2, v57
	ds_read_b32 v59, v50
	v_add_u32_e32 v60, v58, v55
	v_mov_b32_e32 v58, -1
	s_waitcnt lgkmcnt(0)
	v_cmp_lt_f32_e32 vcc, v59, v49
	s_nop 1
	v_cndmask_b32_e64 v57, -2, 2, vcc
	v_lshl_add_u32 v50, v57, 2, v50
	ds_read_b32 v51, v50
	v_add_u32_e32 v57, v57, v60
	v_cndmask_b32_e32 v55, v52, v60, vcc
	v_cndmask_b32_e32 v56, v56, v59, vcc
	v_mov_b32_e32 v52, v57
	s_waitcnt lgkmcnt(0)
	v_cmp_lt_f32_e64 s[10:11], v51, v49
	s_and_saveexec_b64 s[12:13], s[10:11]
; %bb.30:                               ;   in Loop: Header=BB84_6 Depth=1
	v_cndmask_b32_e32 v53, v59, v53, vcc
	v_cndmask_b32_e32 v52, v60, v54, vcc
	v_mov_b32_e32 v58, 1
	v_mov_b32_e32 v55, v57
	;; [unrolled: 1-line block ×4, first 2 shown]
; %bb.31:                               ;   in Loop: Header=BB84_6 Depth=1
	s_or_b64 exec, exec, s[12:13]
	v_lshl_add_u32 v50, v58, 2, v50
	ds_read_b32 v54, v50
	v_add_u32_e32 v53, v58, v57
                                        ; implicit-def: $vgpr50
	s_waitcnt lgkmcnt(0)
	v_cmp_nlt_f32_e32 vcc, v54, v49
	s_and_saveexec_b64 s[10:11], vcc
	s_xor_b64 s[10:11], exec, s[10:11]
; %bb.32:                               ;   in Loop: Header=BB84_6 Depth=1
	v_cmp_eq_u32_e32 vcc, 0, v55
                                        ; implicit-def: $vgpr52
                                        ; implicit-def: $vgpr51
	s_nop 1
	v_cndmask_b32_e32 v50, v56, v16, vcc
	v_add_f32_e32 v50, v54, v50
	v_mul_f32_e32 v50, 0.5, v50
	v_cmp_gt_f32_e32 vcc, v50, v49
                                        ; implicit-def: $vgpr54
                                        ; implicit-def: $vgpr49
	s_nop 1
	v_cndmask_b32_e32 v50, v53, v55, vcc
                                        ; implicit-def: $vgpr53
; %bb.33:                               ;   in Loop: Header=BB84_6 Depth=1
	s_andn2_saveexec_b64 s[10:11], s[10:11]
; %bb.34:                               ;   in Loop: Header=BB84_6 Depth=1
	v_cmp_eq_u32_e32 vcc, s33, v52
	s_nop 1
	v_cndmask_b32_e32 v50, v51, v44, vcc
	v_add_f32_e32 v50, v54, v50
	v_mul_f32_e32 v50, 0.5, v50
	v_cmp_lt_f32_e32 vcc, v50, v49
	s_nop 1
	v_cndmask_b32_e32 v50, v53, v52, vcc
; %bb.35:                               ;   in Loop: Header=BB84_6 Depth=1
	s_or_b64 exec, exec, s[10:11]
	v_lshlrev_b32_e32 v49, 2, v50
	ds_read_b32 v49, v49 offset:8448
	v_lshlrev_b16_e32 v48, 8, v48
	v_lshlrev_b16_e32 v47, 8, v47
	v_or_b32_sdwa v48, v50, v48 dst_sel:DWORD dst_unused:UNUSED_PAD src0_sel:BYTE_0 src1_sel:DWORD
	v_or_b32_sdwa v45, v45, v47 dst_sel:WORD_1 dst_unused:UNUSED_PAD src0_sel:BYTE_0 src1_sel:DWORD
	s_nop 0
	v_or_b32_sdwa v47, v48, v45 dst_sel:DWORD dst_unused:UNUSED_PAD src0_sel:WORD_0 src1_sel:DWORD
	s_waitcnt lgkmcnt(0)
	v_xor_b32_e32 v45, v49, v43
	v_cmp_gt_i32_e32 vcc, 0, v45
	s_and_saveexec_b64 s[10:11], vcc
	s_cbranch_execz .LBB84_41
; %bb.36:                               ;   in Loop: Header=BB84_6 Depth=1
	v_cmp_nlt_f32_e32 vcc, 0, v43
	s_and_saveexec_b64 s[12:13], vcc
	s_xor_b64 s[12:13], exec, s[12:13]
; %bb.37:                               ;   in Loop: Header=BB84_6 Depth=1
	v_add_u16_e32 v45, -1, v50
	v_perm_b32 v47, v45, v47, s34
                                        ; implicit-def: $vgpr50
; %bb.38:                               ;   in Loop: Header=BB84_6 Depth=1
	s_andn2_saveexec_b64 s[12:13], s[12:13]
; %bb.39:                               ;   in Loop: Header=BB84_6 Depth=1
	v_add_u16_e32 v45, 1, v50
	v_perm_b32 v47, v45, v47, s34
; %bb.40:                               ;   in Loop: Header=BB84_6 Depth=1
	s_or_b64 exec, exec, s[12:13]
.LBB84_41:                              ;   in Loop: Header=BB84_6 Depth=1
	s_or_b64 exec, exec, s[10:11]
	v_cvt_f32_f16_sdwa v14, v14 dst_sel:DWORD dst_unused:UNUSED_PAD src0_sel:WORD_1
	v_lshlrev_b32_sdwa v45, v35, v47 dst_sel:DWORD dst_unused:UNUSED_PAD src0_sel:DWORD src1_sel:BYTE_1
	ds_read_b32 v45, v45 offset:8448
	v_mov_b32_e32 v57, -16
	v_mul_f32_e32 v14, s21, v14
	v_fma_mix_f32 v48, v41, s20, v14 op_sel_hi:[1,0,0]
	s_waitcnt lgkmcnt(0)
	v_mul_f32_e32 v45, v45, v46
	v_cndmask_b32_e64 v14, v14, v48, s[0:1]
	v_mul_f32_e32 v45, s23, v45
	v_mul_f32_e32 v48, v14, v14
	v_fmac_f32_e32 v45, v32, v48
	v_mul_f32_e32 v48, v18, v45
	v_cmp_lt_f32_e32 vcc, v17, v48
	s_nop 1
	v_cndmask_b32_e32 v55, 63, v37, vcc
	v_lshlrev_b32_e32 v49, 2, v55
	ds_read_b32 v56, v49 offset:8448
	v_or_b32_e32 v49, 0x2100, v49
	v_cndmask_b32_e32 v50, 0, v36, vcc
	v_cndmask_b32_e32 v53, -1.0, v17, vcc
	s_waitcnt lgkmcnt(0)
	v_cmp_lt_f32_e64 s[10:11], v56, v48
	s_nop 1
	v_cndmask_b32_e64 v54, v38, 32, s[10:11]
	v_lshl_add_u32 v51, v54, 2, v49
	ds_read_b32 v49, v51
	v_add_u32_e32 v54, v55, v54
	v_cndmask_b32_e64 v52, v50, v55, s[10:11]
	v_cndmask_b32_e64 v53, v53, v56, s[10:11]
	v_mov_b32_e32 v50, v54
	s_waitcnt lgkmcnt(0)
	v_cmp_lt_f32_e64 s[12:13], v49, v48
	s_and_saveexec_b64 s[24:25], s[12:13]
; %bb.42:                               ;   in Loop: Header=BB84_6 Depth=1
	v_cndmask_b32_e32 v50, v36, v39, vcc
	v_cndmask_b32_e64 v52, v17, 1.0, vcc
	v_cndmask_b32_e64 v50, v55, v50, s[10:11]
	v_cndmask_b32_e64 v55, v56, v52, s[10:11]
	v_mov_b32_e32 v57, 16
	v_mov_b32_e32 v52, v54
	;; [unrolled: 1-line block ×4, first 2 shown]
; %bb.43:                               ;   in Loop: Header=BB84_6 Depth=1
	s_or_b64 exec, exec, s[24:25]
	v_lshl_add_u32 v51, v57, 2, v51
	ds_read_b32 v58, v51
	v_add_u32_e32 v59, v57, v54
	v_mov_b32_e32 v57, -4
	s_waitcnt lgkmcnt(0)
	v_cmp_lt_f32_e32 vcc, v58, v48
	s_nop 1
	v_cndmask_b32_e64 v60, -8, 8, vcc
	v_lshl_add_u32 v56, v60, 2, v51
	ds_read_b32 v51, v56
	v_cndmask_b32_e32 v55, v53, v58, vcc
	v_add_u32_e32 v53, v60, v59
	v_cndmask_b32_e32 v54, v52, v59, vcc
	v_mov_b32_e32 v52, v53
	s_waitcnt lgkmcnt(0)
	v_cmp_lt_f32_e64 s[10:11], v51, v48
	s_and_saveexec_b64 s[12:13], s[10:11]
; %bb.44:                               ;   in Loop: Header=BB84_6 Depth=1
	v_cndmask_b32_e32 v49, v58, v49, vcc
	v_cndmask_b32_e32 v52, v59, v50, vcc
	v_mov_b32_e32 v57, 4
	v_mov_b32_e32 v54, v53
	;; [unrolled: 1-line block ×4, first 2 shown]
; %bb.45:                               ;   in Loop: Header=BB84_6 Depth=1
	s_or_b64 exec, exec, s[12:13]
	v_lshl_add_u32 v49, v57, 2, v56
	ds_read_b32 v59, v49
	v_add_u32_e32 v60, v57, v53
	v_mov_b32_e32 v58, -1
	s_waitcnt lgkmcnt(0)
	v_cmp_lt_f32_e32 vcc, v59, v48
	s_nop 1
	v_cndmask_b32_e64 v50, -2, 2, vcc
	v_lshl_add_u32 v56, v50, 2, v49
	ds_read_b32 v49, v56
	v_add_u32_e32 v57, v50, v60
	v_cndmask_b32_e32 v53, v54, v60, vcc
	v_cndmask_b32_e32 v54, v55, v59, vcc
	v_mov_b32_e32 v50, v57
	s_waitcnt lgkmcnt(0)
	v_cmp_lt_f32_e64 s[10:11], v49, v48
	s_and_saveexec_b64 s[12:13], s[10:11]
; %bb.46:                               ;   in Loop: Header=BB84_6 Depth=1
	v_cndmask_b32_e32 v51, v59, v51, vcc
	v_cndmask_b32_e32 v50, v60, v52, vcc
	v_mov_b32_e32 v58, 1
	v_mov_b32_e32 v53, v57
	;; [unrolled: 1-line block ×4, first 2 shown]
; %bb.47:                               ;   in Loop: Header=BB84_6 Depth=1
	s_or_b64 exec, exec, s[12:13]
	v_lshl_add_u32 v51, v58, 2, v56
	ds_read_b32 v55, v51
	v_add_u32_e32 v52, v58, v57
                                        ; implicit-def: $vgpr51
	s_waitcnt lgkmcnt(0)
	v_cmp_nlt_f32_e32 vcc, v55, v48
	s_and_saveexec_b64 s[10:11], vcc
	s_xor_b64 s[10:11], exec, s[10:11]
; %bb.48:                               ;   in Loop: Header=BB84_6 Depth=1
	v_cmp_eq_u32_e32 vcc, 0, v53
                                        ; implicit-def: $vgpr50
	s_nop 1
	v_cndmask_b32_e32 v49, v54, v16, vcc
	v_add_f32_e32 v49, v55, v49
	v_mul_f32_e32 v49, 0.5, v49
	v_cmp_gt_f32_e32 vcc, v49, v48
                                        ; implicit-def: $vgpr49
                                        ; implicit-def: $vgpr55
                                        ; implicit-def: $vgpr48
	s_nop 1
	v_cndmask_b32_e32 v51, v52, v53, vcc
                                        ; implicit-def: $vgpr52
; %bb.49:                               ;   in Loop: Header=BB84_6 Depth=1
	s_andn2_saveexec_b64 s[10:11], s[10:11]
; %bb.50:                               ;   in Loop: Header=BB84_6 Depth=1
	v_cmp_eq_u32_e32 vcc, s33, v50
	s_nop 1
	v_cndmask_b32_e32 v49, v49, v44, vcc
	v_add_f32_e32 v49, v55, v49
	v_mul_f32_e32 v49, 0.5, v49
	v_cmp_lt_f32_e32 vcc, v49, v48
	s_nop 1
	v_cndmask_b32_e32 v51, v52, v50, vcc
; %bb.51:                               ;   in Loop: Header=BB84_6 Depth=1
	s_or_b64 exec, exec, s[10:11]
	v_lshlrev_b32_e32 v48, 2, v51
	ds_read_b32 v48, v48 offset:8448
	v_perm_b32 v49, v47, v51, s35
	s_waitcnt lgkmcnt(0)
	v_xor_b32_e32 v47, v48, v45
	v_cmp_gt_i32_e32 vcc, 0, v47
	s_and_saveexec_b64 s[10:11], vcc
	s_cbranch_execz .LBB84_57
; %bb.52:                               ;   in Loop: Header=BB84_6 Depth=1
	v_lshlrev_b16_e32 v47, 8, v51
	v_cmp_nlt_f32_e32 vcc, 0, v45
	v_or_b32_sdwa v47, v47, v49 dst_sel:DWORD dst_unused:UNUSED_PAD src0_sel:DWORD src1_sel:BYTE_0
	s_and_saveexec_b64 s[12:13], vcc
	s_xor_b64 s[12:13], exec, s[12:13]
; %bb.53:                               ;   in Loop: Header=BB84_6 Depth=1
	v_add_u16_e32 v47, 0xff00, v47
	v_and_or_b32 v49, v49, s37, v47
                                        ; implicit-def: $vgpr47
; %bb.54:                               ;   in Loop: Header=BB84_6 Depth=1
	s_andn2_saveexec_b64 s[12:13], s[12:13]
; %bb.55:                               ;   in Loop: Header=BB84_6 Depth=1
	v_add_u16_e32 v47, 0x100, v47
	v_and_or_b32 v49, v49, s37, v47
; %bb.56:                               ;   in Loop: Header=BB84_6 Depth=1
	s_or_b64 exec, exec, s[12:13]
.LBB84_57:                              ;   in Loop: Header=BB84_6 Depth=1
	s_or_b64 exec, exec, s[10:11]
	v_cvt_f32_f16_e32 v47, v15
	v_lshlrev_b32_sdwa v48, v35, v49 dst_sel:DWORD dst_unused:UNUSED_PAD src0_sel:DWORD src1_sel:BYTE_2
	ds_read_b32 v48, v48 offset:8448
	v_mov_b32_e32 v59, -16
	v_mul_f32_e32 v47, s21, v47
	v_fma_mix_f32 v50, v11, s20, v47 op_sel_hi:[1,0,0]
	s_waitcnt lgkmcnt(0)
	v_mul_f32_e32 v48, v48, v46
	v_cndmask_b32_e64 v47, v47, v50, s[0:1]
	v_mul_f32_e32 v48, s23, v48
	v_mul_f32_e32 v50, v47, v47
	v_fmac_f32_e32 v48, v32, v50
	v_mul_f32_e32 v50, v18, v48
	v_cmp_lt_f32_e32 vcc, v17, v50
	s_nop 1
	v_cndmask_b32_e32 v57, 63, v37, vcc
	v_lshlrev_b32_e32 v51, 2, v57
	ds_read_b32 v58, v51 offset:8448
	v_or_b32_e32 v51, 0x2100, v51
	v_cndmask_b32_e32 v52, 0, v36, vcc
	v_cndmask_b32_e32 v55, -1.0, v17, vcc
	s_waitcnt lgkmcnt(0)
	v_cmp_lt_f32_e64 s[10:11], v58, v50
	s_nop 1
	v_cndmask_b32_e64 v56, v38, 32, s[10:11]
	v_lshl_add_u32 v54, v56, 2, v51
	ds_read_b32 v51, v54
	v_add_u32_e32 v56, v57, v56
	v_cndmask_b32_e64 v53, v52, v57, s[10:11]
	v_cndmask_b32_e64 v55, v55, v58, s[10:11]
	v_mov_b32_e32 v52, v56
	s_waitcnt lgkmcnt(0)
	v_cmp_lt_f32_e64 s[12:13], v51, v50
	s_and_saveexec_b64 s[24:25], s[12:13]
; %bb.58:                               ;   in Loop: Header=BB84_6 Depth=1
	v_cndmask_b32_e32 v52, v36, v39, vcc
	v_cndmask_b32_e64 v53, v17, 1.0, vcc
	v_cndmask_b32_e64 v52, v57, v52, s[10:11]
	v_cndmask_b32_e64 v57, v58, v53, s[10:11]
	v_mov_b32_e32 v59, 16
	v_mov_b32_e32 v53, v56
	;; [unrolled: 1-line block ×4, first 2 shown]
; %bb.59:                               ;   in Loop: Header=BB84_6 Depth=1
	s_or_b64 exec, exec, s[24:25]
	v_lshl_add_u32 v54, v59, 2, v54
	ds_read_b32 v60, v54
	v_add_u32_e32 v61, v59, v56
	v_mov_b32_e32 v59, -4
	s_waitcnt lgkmcnt(0)
	v_cmp_lt_f32_e32 vcc, v60, v50
	s_nop 1
	v_cndmask_b32_e64 v58, -8, 8, vcc
	v_lshl_add_u32 v56, v58, 2, v54
	ds_read_b32 v54, v56
	v_add_u32_e32 v58, v58, v61
	v_cndmask_b32_e32 v53, v53, v61, vcc
	v_cndmask_b32_e32 v57, v55, v60, vcc
	v_mov_b32_e32 v55, v58
	s_waitcnt lgkmcnt(0)
	v_cmp_lt_f32_e64 s[10:11], v54, v50
	s_and_saveexec_b64 s[12:13], s[10:11]
; %bb.60:                               ;   in Loop: Header=BB84_6 Depth=1
	v_cndmask_b32_e32 v51, v60, v51, vcc
	v_cndmask_b32_e32 v55, v61, v52, vcc
	v_mov_b32_e32 v59, 4
	v_mov_b32_e32 v53, v58
	;; [unrolled: 1-line block ×4, first 2 shown]
; %bb.61:                               ;   in Loop: Header=BB84_6 Depth=1
	s_or_b64 exec, exec, s[12:13]
	v_lshl_add_u32 v51, v59, 2, v56
	ds_read_b32 v60, v51
	v_add_u32_e32 v61, v59, v58
	v_mov_b32_e32 v59, -1
	s_waitcnt lgkmcnt(0)
	v_cmp_lt_f32_e32 vcc, v60, v50
	s_nop 1
	v_cndmask_b32_e64 v58, -2, 2, vcc
	v_lshl_add_u32 v51, v58, 2, v51
	ds_read_b32 v52, v51
	v_add_u32_e32 v58, v58, v61
	v_cndmask_b32_e32 v56, v53, v61, vcc
	v_cndmask_b32_e32 v57, v57, v60, vcc
	v_mov_b32_e32 v53, v58
	s_waitcnt lgkmcnt(0)
	v_cmp_lt_f32_e64 s[10:11], v52, v50
	s_and_saveexec_b64 s[12:13], s[10:11]
; %bb.62:                               ;   in Loop: Header=BB84_6 Depth=1
	v_cndmask_b32_e32 v54, v60, v54, vcc
	v_cndmask_b32_e32 v53, v61, v55, vcc
	v_mov_b32_e32 v59, 1
	v_mov_b32_e32 v56, v58
	;; [unrolled: 1-line block ×4, first 2 shown]
; %bb.63:                               ;   in Loop: Header=BB84_6 Depth=1
	s_or_b64 exec, exec, s[12:13]
	v_lshl_add_u32 v51, v59, 2, v51
	ds_read_b32 v55, v51
	v_add_u32_e32 v54, v59, v58
                                        ; implicit-def: $vgpr51
	s_waitcnt lgkmcnt(0)
	v_cmp_nlt_f32_e32 vcc, v55, v50
	s_and_saveexec_b64 s[10:11], vcc
	s_xor_b64 s[10:11], exec, s[10:11]
; %bb.64:                               ;   in Loop: Header=BB84_6 Depth=1
	v_cmp_eq_u32_e32 vcc, 0, v56
                                        ; implicit-def: $vgpr53
                                        ; implicit-def: $vgpr52
	s_nop 1
	v_cndmask_b32_e32 v51, v57, v16, vcc
	v_add_f32_e32 v51, v55, v51
	v_mul_f32_e32 v51, 0.5, v51
	v_cmp_gt_f32_e32 vcc, v51, v50
                                        ; implicit-def: $vgpr55
                                        ; implicit-def: $vgpr50
	s_nop 1
	v_cndmask_b32_e32 v51, v54, v56, vcc
                                        ; implicit-def: $vgpr54
; %bb.65:                               ;   in Loop: Header=BB84_6 Depth=1
	s_andn2_saveexec_b64 s[10:11], s[10:11]
; %bb.66:                               ;   in Loop: Header=BB84_6 Depth=1
	v_cmp_eq_u32_e32 vcc, s33, v53
	s_nop 1
	v_cndmask_b32_e32 v51, v52, v44, vcc
	v_add_f32_e32 v51, v55, v51
	v_mul_f32_e32 v51, 0.5, v51
	v_cmp_lt_f32_e32 vcc, v51, v50
	s_nop 1
	v_cndmask_b32_e32 v51, v54, v53, vcc
; %bb.67:                               ;   in Loop: Header=BB84_6 Depth=1
	s_or_b64 exec, exec, s[10:11]
	v_lshlrev_b32_e32 v50, 2, v51
	ds_read_b32 v50, v50 offset:8448
	v_perm_b32 v49, v49, v51, s39
	s_waitcnt lgkmcnt(0)
	v_xor_b32_e32 v50, v50, v48
	v_cmp_gt_i32_e32 vcc, 0, v50
	s_and_saveexec_b64 s[10:11], vcc
	s_cbranch_execz .LBB84_73
; %bb.68:                               ;   in Loop: Header=BB84_6 Depth=1
	v_cmp_nlt_f32_e32 vcc, 0, v48
	s_and_saveexec_b64 s[12:13], vcc
	s_xor_b64 s[12:13], exec, s[12:13]
; %bb.69:                               ;   in Loop: Header=BB84_6 Depth=1
	v_add_u16_e32 v50, -1, v51
	v_perm_b32 v49, v49, v50, s39
                                        ; implicit-def: $vgpr51
; %bb.70:                               ;   in Loop: Header=BB84_6 Depth=1
	s_andn2_saveexec_b64 s[12:13], s[12:13]
; %bb.71:                               ;   in Loop: Header=BB84_6 Depth=1
	v_add_u16_e32 v50, 1, v51
	v_perm_b32 v49, v49, v50, s39
; %bb.72:                               ;   in Loop: Header=BB84_6 Depth=1
	s_or_b64 exec, exec, s[12:13]
.LBB84_73:                              ;   in Loop: Header=BB84_6 Depth=1
	s_or_b64 exec, exec, s[10:11]
	v_cvt_f32_f16_sdwa v15, v15 dst_sel:DWORD dst_unused:UNUSED_PAD src0_sel:WORD_1
	v_lshlrev_b32_sdwa v50, v35, v49 dst_sel:DWORD dst_unused:UNUSED_PAD src0_sel:DWORD src1_sel:BYTE_3
	ds_read_b32 v50, v50 offset:8448
	v_mov_b32_e32 v60, -16
	v_mul_f32_e32 v15, s21, v15
	v_fma_mix_f32 v51, v40, s20, v15 op_sel_hi:[1,0,0]
	s_waitcnt lgkmcnt(0)
	v_mul_f32_e32 v46, v50, v46
	v_cndmask_b32_e64 v15, v15, v51, s[0:1]
	v_mul_f32_e32 v46, s23, v46
	v_mul_f32_e32 v50, v15, v15
	v_fmac_f32_e32 v46, v32, v50
	v_mul_f32_e32 v50, v18, v46
	v_cmp_lt_f32_e32 vcc, v17, v50
	s_nop 1
	v_cndmask_b32_e32 v57, 63, v37, vcc
	v_lshlrev_b32_e32 v51, 2, v57
	ds_read_b32 v58, v51 offset:8448
	v_or_b32_e32 v51, 0x2100, v51
	v_cndmask_b32_e32 v53, 0, v36, vcc
	v_cndmask_b32_e32 v55, -1.0, v17, vcc
	s_waitcnt lgkmcnt(0)
	v_cmp_lt_f32_e64 s[10:11], v58, v50
	s_nop 1
	v_cndmask_b32_e64 v56, v38, 32, s[10:11]
	v_lshl_add_u32 v52, v56, 2, v51
	ds_read_b32 v51, v52
	v_add_u32_e32 v56, v57, v56
	v_cndmask_b32_e64 v54, v53, v57, s[10:11]
	v_cndmask_b32_e64 v55, v55, v58, s[10:11]
	v_mov_b32_e32 v53, v56
	s_waitcnt lgkmcnt(0)
	v_cmp_lt_f32_e64 s[12:13], v51, v50
	s_and_saveexec_b64 s[24:25], s[12:13]
; %bb.74:                               ;   in Loop: Header=BB84_6 Depth=1
	v_cndmask_b32_e64 v17, v17, 1.0, vcc
	v_cndmask_b32_e32 v53, v36, v39, vcc
	v_cndmask_b32_e64 v17, v58, v17, s[10:11]
	v_cndmask_b32_e64 v53, v57, v53, s[10:11]
	v_mov_b32_e32 v60, 16
	v_mov_b32_e32 v54, v56
	;; [unrolled: 1-line block ×4, first 2 shown]
; %bb.75:                               ;   in Loop: Header=BB84_6 Depth=1
	s_or_b64 exec, exec, s[24:25]
	v_lshl_add_u32 v17, v60, 2, v52
	ds_read_b32 v59, v17
	v_add_u32_e32 v60, v60, v56
	v_mov_b32_e32 v58, -4
	s_waitcnt lgkmcnt(0)
	v_cmp_lt_f32_e32 vcc, v59, v50
	s_nop 1
	v_cndmask_b32_e64 v57, -8, 8, vcc
	v_lshl_add_u32 v17, v57, 2, v17
	ds_read_b32 v52, v17
	v_add_u32_e32 v57, v57, v60
	v_cndmask_b32_e32 v56, v54, v60, vcc
	v_cndmask_b32_e32 v55, v55, v59, vcc
	v_mov_b32_e32 v54, v57
	s_waitcnt lgkmcnt(0)
	v_cmp_lt_f32_e64 s[10:11], v52, v50
	s_and_saveexec_b64 s[12:13], s[10:11]
; %bb.76:                               ;   in Loop: Header=BB84_6 Depth=1
	v_cndmask_b32_e32 v51, v59, v51, vcc
	v_cndmask_b32_e32 v54, v60, v53, vcc
	v_mov_b32_e32 v58, 4
	v_mov_b32_e32 v56, v57
	v_mov_b32_e32 v55, v52
	v_mov_b32_e32 v52, v51
; %bb.77:                               ;   in Loop: Header=BB84_6 Depth=1
	s_or_b64 exec, exec, s[12:13]
	v_lshl_add_u32 v17, v58, 2, v17
	ds_read_b32 v60, v17
	v_add_u32_e32 v61, v58, v57
	v_mov_b32_e32 v59, -1
	s_waitcnt lgkmcnt(0)
	v_cmp_lt_f32_e32 vcc, v60, v50
	s_nop 1
	v_cndmask_b32_e64 v51, -2, 2, vcc
	v_lshl_add_u32 v57, v51, 2, v17
	ds_read_b32 v17, v57
	v_add_u32_e32 v58, v51, v61
	v_cndmask_b32_e32 v53, v56, v61, vcc
	v_cndmask_b32_e32 v55, v55, v60, vcc
	v_mov_b32_e32 v51, v58
	s_waitcnt lgkmcnt(0)
	v_cmp_lt_f32_e64 s[10:11], v17, v50
	s_and_saveexec_b64 s[12:13], s[10:11]
; %bb.78:                               ;   in Loop: Header=BB84_6 Depth=1
	v_cndmask_b32_e32 v52, v60, v52, vcc
	v_cndmask_b32_e32 v51, v61, v54, vcc
	v_mov_b32_e32 v59, 1
	v_mov_b32_e32 v53, v58
	;; [unrolled: 1-line block ×4, first 2 shown]
; %bb.79:                               ;   in Loop: Header=BB84_6 Depth=1
	s_or_b64 exec, exec, s[12:13]
	v_lshl_add_u32 v52, v59, 2, v57
	ds_read_b32 v56, v52
	v_add_u32_e32 v54, v59, v58
                                        ; implicit-def: $vgpr52
	s_waitcnt lgkmcnt(0)
	v_cmp_nlt_f32_e32 vcc, v56, v50
	s_and_saveexec_b64 s[10:11], vcc
	s_xor_b64 s[10:11], exec, s[10:11]
; %bb.80:                               ;   in Loop: Header=BB84_6 Depth=1
	v_cmp_eq_u32_e32 vcc, 0, v53
                                        ; implicit-def: $vgpr51
                                        ; implicit-def: $vgpr17
                                        ; implicit-def: $vgpr44
	s_nop 1
	v_cndmask_b32_e32 v16, v55, v16, vcc
	v_add_f32_e32 v16, v56, v16
	v_mul_f32_e32 v16, 0.5, v16
	v_cmp_gt_f32_e32 vcc, v16, v50
                                        ; implicit-def: $vgpr56
                                        ; implicit-def: $vgpr50
	s_nop 1
	v_cndmask_b32_e32 v52, v54, v53, vcc
                                        ; implicit-def: $vgpr54
; %bb.81:                               ;   in Loop: Header=BB84_6 Depth=1
	s_andn2_saveexec_b64 s[10:11], s[10:11]
; %bb.82:                               ;   in Loop: Header=BB84_6 Depth=1
	v_cmp_eq_u32_e32 vcc, s33, v51
	s_nop 1
	v_cndmask_b32_e32 v16, v17, v44, vcc
	v_add_f32_e32 v16, v56, v16
	v_mul_f32_e32 v16, 0.5, v16
	v_cmp_lt_f32_e32 vcc, v16, v50
	s_nop 1
	v_cndmask_b32_e32 v52, v54, v51, vcc
; %bb.83:                               ;   in Loop: Header=BB84_6 Depth=1
	s_or_b64 exec, exec, s[10:11]
	v_lshlrev_b32_e32 v16, 2, v52
	ds_read_b32 v17, v16 offset:8448
	v_perm_b32 v16, v49, v52, s40
	s_waitcnt lgkmcnt(0)
	v_xor_b32_e32 v17, v17, v46
	v_cmp_gt_i32_e32 vcc, 0, v17
	s_and_saveexec_b64 s[10:11], vcc
	s_cbranch_execz .LBB84_89
; %bb.84:                               ;   in Loop: Header=BB84_6 Depth=1
	v_cmp_nlt_f32_e32 vcc, 0, v46
	v_lshlrev_b16_e32 v17, 8, v52
	v_and_b32_sdwa v44, v16, s33 dst_sel:DWORD dst_unused:UNUSED_PAD src0_sel:WORD_1 src1_sel:DWORD
	s_and_saveexec_b64 s[12:13], vcc
	s_xor_b64 s[12:13], exec, s[12:13]
; %bb.85:                               ;   in Loop: Header=BB84_6 Depth=1
	v_or_b32_e32 v17, v17, v44
	v_add_u16_sdwa v17, v17, s36 dst_sel:WORD_1 dst_unused:UNUSED_PAD src0_sel:DWORD src1_sel:DWORD
                                        ; implicit-def: $vgpr44
	s_nop 0
	v_and_or_b32 v16, v16, s26, v17
                                        ; implicit-def: $vgpr17
; %bb.86:                               ;   in Loop: Header=BB84_6 Depth=1
	s_andn2_saveexec_b64 s[12:13], s[12:13]
; %bb.87:                               ;   in Loop: Header=BB84_6 Depth=1
	v_or_b32_e32 v17, v17, v44
	v_add_u16_sdwa v17, v17, s38 dst_sel:WORD_1 dst_unused:UNUSED_PAD src0_sel:DWORD src1_sel:DWORD
	s_nop 0
	v_and_or_b32 v16, v16, s26, v17
; %bb.88:                               ;   in Loop: Header=BB84_6 Depth=1
	s_or_b64 exec, exec, s[12:13]
.LBB84_89:                              ;   in Loop: Header=BB84_6 Depth=1
	s_or_b64 exec, exec, s[10:11]
	v_mul_f32_e32 v17, 0x4f800000, v46
	v_cmp_gt_f32_e32 vcc, s41, v46
	v_mul_f32_e32 v51, 0x4f800000, v48
	v_cvt_f32_f16_e32 v11, v11
	v_cndmask_b32_e32 v17, v46, v17, vcc
	v_sqrt_f32_e32 v44, v17
	v_cvt_f32_f16_e32 v10, v10
	v_cvt_f32_f16_e32 v41, v41
	;; [unrolled: 1-line block ×3, first 2 shown]
	v_add_u32_e32 v46, -1, v44
	v_fma_f32 v49, -v46, v44, v17
	v_cmp_ge_f32_e64 s[10:11], 0, v49
	v_add_u32_e32 v49, 1, v44
	s_nop 0
	v_cndmask_b32_e64 v46, v44, v46, s[10:11]
	v_fma_f32 v44, -v49, v44, v17
	v_cmp_lt_f32_e64 s[10:11], 0, v44
	s_nop 1
	v_cndmask_b32_e64 v44, v46, v49, s[10:11]
	v_mul_f32_e32 v46, 0x37800000, v44
	v_cndmask_b32_e32 v44, v44, v46, vcc
	v_cmp_class_f32_e32 vcc, v17, v34
	s_nop 1
	v_cndmask_b32_e32 v17, v44, v17, vcc
	v_add_f32_e32 v17, s28, v17
	v_div_scale_f32 v44, s[10:11], v17, v17, v15
	v_rcp_f32_e32 v46, v44
	v_cmp_gt_f32_e64 s[10:11], s41, v48
	v_fma_f32 v49, -v44, v46, 1.0
	s_nop 0
	v_cndmask_b32_e64 v48, v48, v51, s[10:11]
	v_fmac_f32_e32 v46, v49, v46
	v_div_scale_f32 v49, vcc, v15, v17, v15
	v_sqrt_f32_e32 v51, v48
	v_mul_f32_e32 v50, v49, v46
	v_fma_f32 v52, -v44, v50, v49
	v_fmac_f32_e32 v50, v52, v46
	v_fma_f32 v44, -v44, v50, v49
	v_add_u32_e32 v49, -1, v51
	v_fma_f32 v52, -v49, v51, v48
	v_cmp_ge_f32_e64 s[12:13], 0, v52
	v_add_u32_e32 v52, 1, v51
	v_div_fmas_f32 v44, v44, v46, v50
	v_cndmask_b32_e64 v49, v51, v49, s[12:13]
	v_fma_f32 v51, -v52, v51, v48
	v_cmp_lt_f32_e64 s[12:13], 0, v51
	v_mul_f32_e32 v46, 0x4f800000, v45
	v_div_fixup_f32 v15, v44, v17, v15
	v_cndmask_b32_e64 v49, v49, v52, s[12:13]
	v_mul_f32_e32 v51, 0x37800000, v49
	v_cndmask_b32_e64 v49, v49, v51, s[10:11]
	v_cmp_class_f32_e64 s[10:11], v48, v34
	s_nop 1
	v_cndmask_b32_e64 v48, v49, v48, s[10:11]
	v_add_f32_e32 v48, s28, v48
	v_div_scale_f32 v49, s[10:11], v48, v48, v47
	v_rcp_f32_e32 v51, v49
	v_cmp_gt_f32_e64 s[10:11], s41, v45
	v_fma_f32 v17, -v49, v51, 1.0
	s_nop 0
	v_cndmask_b32_e64 v45, v45, v46, s[10:11]
	v_fmac_f32_e32 v51, v17, v51
	v_div_scale_f32 v17, vcc, v47, v48, v47
	v_sqrt_f32_e32 v46, v45
	v_mul_f32_e32 v44, v17, v51
	v_fma_f32 v50, -v49, v44, v17
	v_fmac_f32_e32 v44, v50, v51
	v_fma_f32 v17, -v49, v44, v17
	v_add_u32_e32 v49, -1, v46
	v_fma_f32 v50, -v49, v46, v45
	v_cmp_ge_f32_e64 s[12:13], 0, v50
	v_add_u32_e32 v50, 1, v46
	v_div_fmas_f32 v17, v17, v51, v44
	v_cndmask_b32_e64 v49, v46, v49, s[12:13]
	v_fma_f32 v46, -v50, v46, v45
	v_cmp_lt_f32_e64 s[12:13], 0, v46
	v_div_fixup_f32 v17, v17, v48, v47
	v_mul_f32_e32 v47, 0x4f800000, v43
	v_cndmask_b32_e64 v46, v49, v50, s[12:13]
	v_mul_f32_e32 v49, 0x37800000, v46
	v_cndmask_b32_e64 v46, v46, v49, s[10:11]
	v_cmp_class_f32_e64 s[10:11], v45, v34
	v_fma_mixlo_f16 v11, -v17, s29, v11
	v_fma_mixhi_f16 v11, -v15, s29, v40
	v_cndmask_b32_e64 v45, v46, v45, s[10:11]
	v_add_f32_e32 v45, s28, v45
	v_div_scale_f32 v46, s[10:11], v45, v45, v14
	v_rcp_f32_e32 v49, v46
	v_cmp_gt_f32_e64 s[10:11], s41, v43
	v_fma_f32 v17, -v46, v49, 1.0
	s_nop 0
	v_cndmask_b32_e64 v43, v43, v47, s[10:11]
	v_fmac_f32_e32 v49, v17, v49
	v_div_scale_f32 v17, vcc, v14, v45, v14
	v_sqrt_f32_e32 v47, v43
	v_mul_f32_e32 v44, v17, v49
	v_fma_f32 v48, -v46, v44, v17
	v_fmac_f32_e32 v44, v48, v49
	v_fma_f32 v17, -v46, v44, v17
	v_add_u32_e32 v46, -1, v47
	v_fma_f32 v48, -v46, v47, v43
	v_cmp_ge_f32_e64 s[12:13], 0, v48
	v_add_u32_e32 v48, 1, v47
	v_div_fmas_f32 v17, v17, v49, v44
	v_cndmask_b32_e64 v46, v47, v46, s[12:13]
	v_fma_f32 v47, -v48, v47, v43
	v_cmp_lt_f32_e64 s[12:13], 0, v47
	v_div_fixup_f32 v14, v17, v45, v14
	s_nop 0
	v_cndmask_b32_e64 v46, v46, v48, s[12:13]
	v_mul_f32_e32 v47, 0x37800000, v46
	v_cndmask_b32_e64 v46, v46, v47, s[10:11]
	v_cmp_class_f32_e64 s[10:11], v43, v34
	s_nop 1
	v_cndmask_b32_e64 v43, v46, v43, s[10:11]
	v_add_f32_e32 v43, s28, v43
	v_div_scale_f32 v46, s[10:11], v43, v43, v42
	v_rcp_f32_e32 v47, v46
	s_nop 0
	v_fma_f32 v17, -v46, v47, 1.0
	v_fmac_f32_e32 v47, v17, v47
	v_div_scale_f32 v17, vcc, v42, v43, v42
	v_mul_f32_e32 v44, v17, v47
	v_fma_f32 v45, -v46, v44, v17
	v_fmac_f32_e32 v44, v45, v47
	v_fma_f32 v17, -v46, v44, v17
	v_div_fmas_f32 v17, v17, v47, v44
	v_div_fixup_f32 v17, v17, v43, v42
	v_fma_mixlo_f16 v10, -v17, s29, v10
	v_fma_mixhi_f16 v10, -v14, s29, v41
	ds_write_b64 v27, v[10:11]
	; wave barrier
	ds_read_u16 v10, v23
	ds_read_u16 v41, v24
	;; [unrolled: 1-line block ×4, first 2 shown]
	s_and_saveexec_b64 s[10:11], s[2:3]
	s_xor_b64 s[10:11], exec, s[10:11]
	s_cbranch_execnz .LBB84_104
; %bb.90:                               ;   in Loop: Header=BB84_6 Depth=1
	s_or_b64 exec, exec, s[10:11]
	s_and_saveexec_b64 s[10:11], s[4:5]
	s_cbranch_execnz .LBB84_105
.LBB84_91:                              ;   in Loop: Header=BB84_6 Depth=1
	s_or_b64 exec, exec, s[10:11]
	s_and_saveexec_b64 s[10:11], s[6:7]
	s_cbranch_execnz .LBB84_106
.LBB84_92:                              ;   in Loop: Header=BB84_6 Depth=1
	s_or_b64 exec, exec, s[10:11]
	s_and_saveexec_b64 s[10:11], s[8:9]
	s_cbranch_execz .LBB84_94
.LBB84_93:                              ;   in Loop: Header=BB84_6 Depth=1
	s_waitcnt lgkmcnt(0)
	global_store_short v[12:13], v40, off offset:384
.LBB84_94:                              ;   in Loop: Header=BB84_6 Depth=1
	s_or_b64 exec, exec, s[10:11]
	s_waitcnt lgkmcnt(0)
	s_barrier
	ds_write_b32 v31, v16
	; wave barrier
	ds_read_u8 v14, v28
	ds_read_u8 v13, v29
	;; [unrolled: 1-line block ×3, first 2 shown]
	s_and_saveexec_b64 s[10:11], s[2:3]
	s_cbranch_execnz .LBB84_107
; %bb.95:                               ;   in Loop: Header=BB84_6 Depth=1
	s_or_b64 exec, exec, s[10:11]
	s_and_saveexec_b64 s[2:3], s[4:5]
	s_cbranch_execnz .LBB84_108
.LBB84_96:                              ;   in Loop: Header=BB84_6 Depth=1
	s_or_b64 exec, exec, s[2:3]
	s_and_saveexec_b64 s[2:3], s[6:7]
	s_cbranch_execnz .LBB84_109
.LBB84_97:                              ;   in Loop: Header=BB84_6 Depth=1
	s_or_b64 exec, exec, s[2:3]
	s_and_saveexec_b64 s[2:3], s[8:9]
	s_cbranch_execz .LBB84_4
	s_branch .LBB84_110
.LBB84_98:                              ;   in Loop: Header=BB84_6 Depth=1
	global_load_ubyte v13, v[8:9], off
	v_mov_b32_e32 v12, 0x80
	v_mov_b32_e32 v16, 0x80
	s_or_b64 exec, exec, s[10:11]
	v_mov_b32_e32 v17, v12
	s_and_saveexec_b64 s[10:11], s[4:5]
	s_cbranch_execz .LBB84_16
.LBB84_99:                              ;   in Loop: Header=BB84_6 Depth=1
	global_load_ubyte v17, v[8:9], off offset:64
	s_or_b64 exec, exec, s[10:11]
	s_and_saveexec_b64 s[10:11], s[6:7]
	s_cbranch_execz .LBB84_17
.LBB84_100:                             ;   in Loop: Header=BB84_6 Depth=1
	global_load_ubyte v12, v[8:9], off offset:128
	s_or_b64 exec, exec, s[10:11]
	s_and_saveexec_b64 s[10:11], s[8:9]
	s_cbranch_execnz .LBB84_18
	s_branch .LBB84_19
.LBB84_101:                             ;   in Loop: Header=BB84_6 Depth=1
	global_load_ushort v10, v[12:13], off
	s_or_b64 exec, exec, s[10:11]
	s_and_saveexec_b64 s[10:11], s[4:5]
	s_cbranch_execz .LBB84_21
.LBB84_102:                             ;   in Loop: Header=BB84_6 Depth=1
	global_load_ushort v41, v[12:13], off offset:128
	s_or_b64 exec, exec, s[10:11]
	s_and_saveexec_b64 s[10:11], s[6:7]
	s_cbranch_execz .LBB84_22
.LBB84_103:                             ;   in Loop: Header=BB84_6 Depth=1
	global_load_ushort v11, v[12:13], off offset:256
	s_or_b64 exec, exec, s[10:11]
	s_and_saveexec_b64 s[10:11], s[8:9]
	s_cbranch_execnz .LBB84_23
	s_branch .LBB84_24
.LBB84_104:                             ;   in Loop: Header=BB84_6 Depth=1
	s_waitcnt lgkmcnt(3)
	global_store_short v[12:13], v10, off
	s_or_b64 exec, exec, s[10:11]
	s_and_saveexec_b64 s[10:11], s[4:5]
	s_cbranch_execz .LBB84_91
.LBB84_105:                             ;   in Loop: Header=BB84_6 Depth=1
	s_waitcnt lgkmcnt(2)
	global_store_short v[12:13], v41, off offset:128
	s_or_b64 exec, exec, s[10:11]
	s_and_saveexec_b64 s[10:11], s[6:7]
	s_cbranch_execz .LBB84_92
.LBB84_106:                             ;   in Loop: Header=BB84_6 Depth=1
	s_waitcnt lgkmcnt(1)
	global_store_short v[12:13], v11, off offset:256
	s_or_b64 exec, exec, s[10:11]
	s_and_saveexec_b64 s[10:11], s[8:9]
	s_cbranch_execnz .LBB84_93
	s_branch .LBB84_94
.LBB84_107:                             ;   in Loop: Header=BB84_6 Depth=1
	ds_read_u8 v15, v2
	s_waitcnt lgkmcnt(0)
	global_store_byte v[8:9], v15, off
	s_or_b64 exec, exec, s[10:11]
	s_and_saveexec_b64 s[2:3], s[4:5]
	s_cbranch_execz .LBB84_96
.LBB84_108:                             ;   in Loop: Header=BB84_6 Depth=1
	s_waitcnt lgkmcnt(2)
	global_store_byte v[8:9], v14, off offset:64
	s_or_b64 exec, exec, s[2:3]
	s_and_saveexec_b64 s[2:3], s[6:7]
	s_cbranch_execz .LBB84_97
.LBB84_109:                             ;   in Loop: Header=BB84_6 Depth=1
	s_waitcnt lgkmcnt(1)
	global_store_byte v[8:9], v13, off offset:128
	s_or_b64 exec, exec, s[2:3]
	s_and_saveexec_b64 s[2:3], s[8:9]
	s_cbranch_execz .LBB84_4
.LBB84_110:                             ;   in Loop: Header=BB84_6 Depth=1
	s_waitcnt lgkmcnt(0)
	global_store_byte v[8:9], v12, off offset:192
	s_branch .LBB84_4
.LBB84_111:
	s_endpgm
	.section	.rodata,"a",@progbits
	.p2align	6, 0x0
	.amdhsa_kernel _Z26kOptimizerStatic8bit1StateI6__halfLi2EEvPT_S2_PhPKffffffifPfS6_S6_ffi
		.amdhsa_group_segment_fixed_size 9472
		.amdhsa_private_segment_fixed_size 0
		.amdhsa_kernarg_size 360
		.amdhsa_user_sgpr_count 2
		.amdhsa_user_sgpr_dispatch_ptr 0
		.amdhsa_user_sgpr_queue_ptr 0
		.amdhsa_user_sgpr_kernarg_segment_ptr 1
		.amdhsa_user_sgpr_dispatch_id 0
		.amdhsa_user_sgpr_kernarg_preload_length 0
		.amdhsa_user_sgpr_kernarg_preload_offset 0
		.amdhsa_user_sgpr_private_segment_size 0
		.amdhsa_uses_dynamic_stack 0
		.amdhsa_enable_private_segment 0
		.amdhsa_system_sgpr_workgroup_id_x 1
		.amdhsa_system_sgpr_workgroup_id_y 0
		.amdhsa_system_sgpr_workgroup_id_z 0
		.amdhsa_system_sgpr_workgroup_info 0
		.amdhsa_system_vgpr_workitem_id 0
		.amdhsa_next_free_vgpr 62
		.amdhsa_next_free_sgpr 43
		.amdhsa_accum_offset 64
		.amdhsa_reserve_vcc 1
		.amdhsa_float_round_mode_32 0
		.amdhsa_float_round_mode_16_64 0
		.amdhsa_float_denorm_mode_32 3
		.amdhsa_float_denorm_mode_16_64 3
		.amdhsa_dx10_clamp 1
		.amdhsa_ieee_mode 1
		.amdhsa_fp16_overflow 0
		.amdhsa_tg_split 0
		.amdhsa_exception_fp_ieee_invalid_op 0
		.amdhsa_exception_fp_denorm_src 0
		.amdhsa_exception_fp_ieee_div_zero 0
		.amdhsa_exception_fp_ieee_overflow 0
		.amdhsa_exception_fp_ieee_underflow 0
		.amdhsa_exception_fp_ieee_inexact 0
		.amdhsa_exception_int_div_zero 0
	.end_amdhsa_kernel
	.section	.text._Z26kOptimizerStatic8bit1StateI6__halfLi2EEvPT_S2_PhPKffffffifPfS6_S6_ffi,"axG",@progbits,_Z26kOptimizerStatic8bit1StateI6__halfLi2EEvPT_S2_PhPKffffffifPfS6_S6_ffi,comdat
.Lfunc_end84:
	.size	_Z26kOptimizerStatic8bit1StateI6__halfLi2EEvPT_S2_PhPKffffffifPfS6_S6_ffi, .Lfunc_end84-_Z26kOptimizerStatic8bit1StateI6__halfLi2EEvPT_S2_PhPKffffffifPfS6_S6_ffi
                                        ; -- End function
	.section	.AMDGPU.csdata,"",@progbits
; Kernel info:
; codeLenInByte = 5392
; NumSgprs: 49
; NumVgprs: 62
; NumAgprs: 0
; TotalNumVgprs: 62
; ScratchSize: 0
; MemoryBound: 0
; FloatMode: 240
; IeeeMode: 1
; LDSByteSize: 9472 bytes/workgroup (compile time only)
; SGPRBlocks: 6
; VGPRBlocks: 7
; NumSGPRsForWavesPerEU: 49
; NumVGPRsForWavesPerEU: 62
; AccumOffset: 64
; Occupancy: 8
; WaveLimiterHint : 0
; COMPUTE_PGM_RSRC2:SCRATCH_EN: 0
; COMPUTE_PGM_RSRC2:USER_SGPR: 2
; COMPUTE_PGM_RSRC2:TRAP_HANDLER: 0
; COMPUTE_PGM_RSRC2:TGID_X_EN: 1
; COMPUTE_PGM_RSRC2:TGID_Y_EN: 0
; COMPUTE_PGM_RSRC2:TGID_Z_EN: 0
; COMPUTE_PGM_RSRC2:TIDIG_COMP_CNT: 0
; COMPUTE_PGM_RSRC3_GFX90A:ACCUM_OFFSET: 15
; COMPUTE_PGM_RSRC3_GFX90A:TG_SPLIT: 0
	.section	.text._Z26kOptimizerStatic8bit1StateIfLi2EEvPT_S1_PhPKffffffifPfS5_S5_ffi,"axG",@progbits,_Z26kOptimizerStatic8bit1StateIfLi2EEvPT_S1_PhPKffffffifPfS5_S5_ffi,comdat
